;; amdgpu-corpus repo=ROCm/rocm-examples kind=compiled arch=gfx906 opt=O3
	.amdgcn_target "amdgcn-amd-amdhsa--gfx906"
	.amdhsa_code_object_version 6
	.section	.text._Z11convolutionILm5EEvPKfPf15HIP_vector_typeIjLj2EE,"axG",@progbits,_Z11convolutionILm5EEvPKfPf15HIP_vector_typeIjLj2EE,comdat
	.protected	_Z11convolutionILm5EEvPKfPf15HIP_vector_typeIjLj2EE ; -- Begin function _Z11convolutionILm5EEvPKfPf15HIP_vector_typeIjLj2EE
	.globl	_Z11convolutionILm5EEvPKfPf15HIP_vector_typeIjLj2EE
	.p2align	8
	.type	_Z11convolutionILm5EEvPKfPf15HIP_vector_typeIjLj2EE,@function
_Z11convolutionILm5EEvPKfPf15HIP_vector_typeIjLj2EE: ; @_Z11convolutionILm5EEvPKfPf15HIP_vector_typeIjLj2EE
; %bb.0:
	s_load_dword s0, s[4:5], 0x24
	s_load_dwordx2 s[2:3], s[4:5], 0x10
	s_waitcnt lgkmcnt(0)
	s_lshr_b32 s1, s0, 16
	s_and_b32 s0, s0, 0xffff
	s_mul_i32 s6, s6, s0
	s_mul_i32 s7, s7, s1
	v_add_u32_e32 v0, s6, v0
	v_add_u32_e32 v2, s7, v1
	v_cmp_gt_u32_e32 vcc, s2, v0
	v_cmp_gt_u32_e64 s[0:1], s3, v2
	s_and_b64 s[0:1], vcc, s[0:1]
	s_and_saveexec_b64 s[6:7], s[0:1]
	s_cbranch_execz .LBB0_2
; %bb.1:
	s_add_u32 s20, s2, 4
	v_mad_u64_u32 v[3:4], s[0:1], s20, v2, 0
	s_addc_u32 s21, 0, 0
	s_load_dwordx4 s[16:19], s[4:5], 0x0
	v_mov_b32_e32 v1, v4
	v_mad_u64_u32 v[4:5], s[0:1], s21, v2, v[1:2]
	v_mov_b32_e32 v1, 0
	s_waitcnt lgkmcnt(0)
	v_mov_b32_e32 v5, s17
	v_lshlrev_b64 v[3:4], 2, v[3:4]
	v_lshlrev_b64 v[0:1], 2, v[0:1]
	v_add_co_u32_e32 v3, vcc, s16, v3
	v_addc_co_u32_e32 v4, vcc, v5, v4, vcc
	v_add_co_u32_e32 v11, vcc, v3, v0
	v_addc_co_u32_e32 v12, vcc, v4, v1, vcc
	global_load_dwordx4 v[3:6], v[11:12], off
	global_load_dword v19, v[11:12], off offset:16
	s_mov_b32 s3, 0
	s_lshl_b64 s[0:1], s[2:3], 2
	v_mov_b32_e32 v7, s1
	v_add_co_u32_e32 v13, vcc, s0, v11
	v_addc_co_u32_e32 v14, vcc, v12, v7, vcc
	global_load_dwordx4 v[7:10], v[13:14], off offset:16
	global_load_dword v20, v[13:14], off offset:32
	v_mad_u64_u32 v[13:14], s[0:1], v2, s2, 0
	s_getpc_b64 s[16:17]
	s_add_u32 s16, s16, d_mask@rel32@lo+4
	s_addc_u32 s17, s17, d_mask@rel32@hi+12
	s_load_dwordx16 s[0:15], s[16:17], 0x0
	s_lshl_b64 s[16:17], s[20:21], 3
	v_mov_b32_e32 v2, s17
	v_add_co_u32_e32 v11, vcc, s16, v11
	v_addc_co_u32_e32 v12, vcc, v12, v2, vcc
	s_lshl_b64 s[20:21], s[20:21], 2
	v_mov_b32_e32 v18, s21
	v_add_co_u32_e32 v15, vcc, s20, v11
	v_addc_co_u32_e32 v16, vcc, v12, v18, vcc
	v_lshlrev_b64 v[13:14], 2, v[13:14]
	v_add_co_u32_e32 v17, vcc, s20, v15
	v_addc_co_u32_e32 v18, vcc, v16, v18, vcc
	v_mov_b32_e32 v21, s19
	s_waitcnt vmcnt(3) lgkmcnt(0)
	v_fma_f32 v22, v3, s0, 0
	v_fmac_f32_e32 v22, s1, v4
	v_fmac_f32_e32 v22, s2, v5
	;; [unrolled: 1-line block ×3, first 2 shown]
	s_waitcnt vmcnt(2)
	v_fmac_f32_e32 v22, s4, v19
	global_load_dword v19, v[11:12], off offset:16
	global_load_dwordx4 v[2:5], v[11:12], off
	s_waitcnt vmcnt(3)
	v_fmac_f32_e32 v22, s5, v7
	v_fmac_f32_e32 v22, s6, v8
	;; [unrolled: 1-line block ×3, first 2 shown]
	global_load_dword v23, v[15:16], off offset:16
	global_load_dwordx4 v[6:9], v[15:16], off
	v_fmac_f32_e32 v22, s8, v10
	v_add_co_u32_e32 v15, vcc, s18, v13
	global_load_dword v16, v[17:18], off offset:16
	global_load_dwordx4 v[10:13], v[17:18], off
	s_waitcnt vmcnt(6)
	v_fmac_f32_e32 v22, s9, v20
	s_getpc_b64 s[8:9]
	s_add_u32 s8, s8, d_mask@rel32@lo+68
	s_addc_u32 s9, s9, d_mask@rel32@hi+76
	s_load_dwordx8 s[0:7], s[8:9], 0x0
	s_load_dword s16, s[8:9], 0x20
	v_addc_co_u32_e32 v14, vcc, v21, v14, vcc
	v_add_co_u32_e32 v0, vcc, v15, v0
	v_addc_co_u32_e32 v1, vcc, v14, v1, vcc
	s_waitcnt vmcnt(4)
	v_fmac_f32_e32 v22, s10, v2
	v_fmac_f32_e32 v22, s11, v3
	;; [unrolled: 1-line block ×5, first 2 shown]
	s_waitcnt vmcnt(2)
	v_fmac_f32_e32 v22, s15, v6
	s_waitcnt lgkmcnt(0)
	v_fmac_f32_e32 v22, s0, v7
	v_fmac_f32_e32 v22, s1, v8
	;; [unrolled: 1-line block ×4, first 2 shown]
	s_waitcnt vmcnt(0)
	v_fmac_f32_e32 v22, s4, v10
	v_fmac_f32_e32 v22, s5, v11
	;; [unrolled: 1-line block ×5, first 2 shown]
	global_store_dword v[0:1], v22, off
.LBB0_2:
	s_endpgm
	.section	.rodata,"a",@progbits
	.p2align	6, 0x0
	.amdhsa_kernel _Z11convolutionILm5EEvPKfPf15HIP_vector_typeIjLj2EE
		.amdhsa_group_segment_fixed_size 0
		.amdhsa_private_segment_fixed_size 0
		.amdhsa_kernarg_size 280
		.amdhsa_user_sgpr_count 6
		.amdhsa_user_sgpr_private_segment_buffer 1
		.amdhsa_user_sgpr_dispatch_ptr 0
		.amdhsa_user_sgpr_queue_ptr 0
		.amdhsa_user_sgpr_kernarg_segment_ptr 1
		.amdhsa_user_sgpr_dispatch_id 0
		.amdhsa_user_sgpr_flat_scratch_init 0
		.amdhsa_user_sgpr_private_segment_size 0
		.amdhsa_uses_dynamic_stack 0
		.amdhsa_system_sgpr_private_segment_wavefront_offset 0
		.amdhsa_system_sgpr_workgroup_id_x 1
		.amdhsa_system_sgpr_workgroup_id_y 1
		.amdhsa_system_sgpr_workgroup_id_z 0
		.amdhsa_system_sgpr_workgroup_info 0
		.amdhsa_system_vgpr_workitem_id 1
		.amdhsa_next_free_vgpr 24
		.amdhsa_next_free_sgpr 22
		.amdhsa_reserve_vcc 1
		.amdhsa_reserve_flat_scratch 0
		.amdhsa_float_round_mode_32 0
		.amdhsa_float_round_mode_16_64 0
		.amdhsa_float_denorm_mode_32 3
		.amdhsa_float_denorm_mode_16_64 3
		.amdhsa_dx10_clamp 1
		.amdhsa_ieee_mode 1
		.amdhsa_fp16_overflow 0
		.amdhsa_exception_fp_ieee_invalid_op 0
		.amdhsa_exception_fp_denorm_src 0
		.amdhsa_exception_fp_ieee_div_zero 0
		.amdhsa_exception_fp_ieee_overflow 0
		.amdhsa_exception_fp_ieee_underflow 0
		.amdhsa_exception_fp_ieee_inexact 0
		.amdhsa_exception_int_div_zero 0
	.end_amdhsa_kernel
	.section	.text._Z11convolutionILm5EEvPKfPf15HIP_vector_typeIjLj2EE,"axG",@progbits,_Z11convolutionILm5EEvPKfPf15HIP_vector_typeIjLj2EE,comdat
.Lfunc_end0:
	.size	_Z11convolutionILm5EEvPKfPf15HIP_vector_typeIjLj2EE, .Lfunc_end0-_Z11convolutionILm5EEvPKfPf15HIP_vector_typeIjLj2EE
                                        ; -- End function
	.set _Z11convolutionILm5EEvPKfPf15HIP_vector_typeIjLj2EE.num_vgpr, 24
	.set _Z11convolutionILm5EEvPKfPf15HIP_vector_typeIjLj2EE.num_agpr, 0
	.set _Z11convolutionILm5EEvPKfPf15HIP_vector_typeIjLj2EE.numbered_sgpr, 22
	.set _Z11convolutionILm5EEvPKfPf15HIP_vector_typeIjLj2EE.num_named_barrier, 0
	.set _Z11convolutionILm5EEvPKfPf15HIP_vector_typeIjLj2EE.private_seg_size, 0
	.set _Z11convolutionILm5EEvPKfPf15HIP_vector_typeIjLj2EE.uses_vcc, 1
	.set _Z11convolutionILm5EEvPKfPf15HIP_vector_typeIjLj2EE.uses_flat_scratch, 0
	.set _Z11convolutionILm5EEvPKfPf15HIP_vector_typeIjLj2EE.has_dyn_sized_stack, 0
	.set _Z11convolutionILm5EEvPKfPf15HIP_vector_typeIjLj2EE.has_recursion, 0
	.set _Z11convolutionILm5EEvPKfPf15HIP_vector_typeIjLj2EE.has_indirect_call, 0
	.section	.AMDGPU.csdata,"",@progbits
; Kernel info:
; codeLenInByte = 540
; TotalNumSgprs: 26
; NumVgprs: 24
; ScratchSize: 0
; MemoryBound: 0
; FloatMode: 240
; IeeeMode: 1
; LDSByteSize: 0 bytes/workgroup (compile time only)
; SGPRBlocks: 3
; VGPRBlocks: 5
; NumSGPRsForWavesPerEU: 26
; NumVGPRsForWavesPerEU: 24
; Occupancy: 10
; WaveLimiterHint : 0
; COMPUTE_PGM_RSRC2:SCRATCH_EN: 0
; COMPUTE_PGM_RSRC2:USER_SGPR: 6
; COMPUTE_PGM_RSRC2:TRAP_HANDLER: 0
; COMPUTE_PGM_RSRC2:TGID_X_EN: 1
; COMPUTE_PGM_RSRC2:TGID_Y_EN: 1
; COMPUTE_PGM_RSRC2:TGID_Z_EN: 0
; COMPUTE_PGM_RSRC2:TIDIG_COMP_CNT: 1
	.section	.AMDGPU.gpr_maximums,"",@progbits
	.set amdgpu.max_num_vgpr, 0
	.set amdgpu.max_num_agpr, 0
	.set amdgpu.max_num_sgpr, 0
	.section	.AMDGPU.csdata,"",@progbits
	.protected	d_mask                  ; @d_mask
	.type	d_mask,@object
	.section	.rodata,"a",@progbits
	.globl	d_mask
	.p2align	4, 0x0
d_mask:
	.zero	100
	.size	d_mask, 100

	.type	__hip_cuid_73654e0ba492f687,@object ; @__hip_cuid_73654e0ba492f687
	.section	.bss,"aw",@nobits
	.globl	__hip_cuid_73654e0ba492f687
__hip_cuid_73654e0ba492f687:
	.byte	0                               ; 0x0
	.size	__hip_cuid_73654e0ba492f687, 1

	.ident	"AMD clang version 22.0.0git (https://github.com/RadeonOpenCompute/llvm-project roc-7.2.4 26084 f58b06dce1f9c15707c5f808fd002e18c2accf7e)"
	.section	".note.GNU-stack","",@progbits
	.addrsig
	.addrsig_sym d_mask
	.addrsig_sym __hip_cuid_73654e0ba492f687
	.amdgpu_metadata
---
amdhsa.kernels:
  - .args:
      - .address_space:  global
        .offset:         0
        .size:           8
        .value_kind:     global_buffer
      - .address_space:  global
        .offset:         8
        .size:           8
        .value_kind:     global_buffer
      - .offset:         16
        .size:           8
        .value_kind:     by_value
      - .offset:         24
        .size:           4
        .value_kind:     hidden_block_count_x
      - .offset:         28
        .size:           4
        .value_kind:     hidden_block_count_y
      - .offset:         32
        .size:           4
        .value_kind:     hidden_block_count_z
      - .offset:         36
        .size:           2
        .value_kind:     hidden_group_size_x
      - .offset:         38
        .size:           2
        .value_kind:     hidden_group_size_y
      - .offset:         40
        .size:           2
        .value_kind:     hidden_group_size_z
      - .offset:         42
        .size:           2
        .value_kind:     hidden_remainder_x
      - .offset:         44
        .size:           2
        .value_kind:     hidden_remainder_y
      - .offset:         46
        .size:           2
        .value_kind:     hidden_remainder_z
      - .offset:         64
        .size:           8
        .value_kind:     hidden_global_offset_x
      - .offset:         72
        .size:           8
        .value_kind:     hidden_global_offset_y
      - .offset:         80
        .size:           8
        .value_kind:     hidden_global_offset_z
      - .offset:         88
        .size:           2
        .value_kind:     hidden_grid_dims
    .group_segment_fixed_size: 0
    .kernarg_segment_align: 8
    .kernarg_segment_size: 280
    .language:       OpenCL C
    .language_version:
      - 2
      - 0
    .max_flat_workgroup_size: 1024
    .name:           _Z11convolutionILm5EEvPKfPf15HIP_vector_typeIjLj2EE
    .private_segment_fixed_size: 0
    .sgpr_count:     26
    .sgpr_spill_count: 0
    .symbol:         _Z11convolutionILm5EEvPKfPf15HIP_vector_typeIjLj2EE.kd
    .uniform_work_group_size: 1
    .uses_dynamic_stack: false
    .vgpr_count:     24
    .vgpr_spill_count: 0
    .wavefront_size: 64
amdhsa.target:   amdgcn-amd-amdhsa--gfx906
amdhsa.version:
  - 1
  - 2
...

	.end_amdgpu_metadata
